;; amdgpu-corpus repo=ROCm/rocFFT kind=compiled arch=gfx906 opt=O3
	.text
	.amdgcn_target "amdgcn-amd-amdhsa--gfx906"
	.amdhsa_code_object_version 6
	.protected	fft_rtc_back_len864_factors_3_6_16_3_wgs_54_tpt_54_halfLds_dp_op_CI_CI_unitstride_sbrr_dirReg ; -- Begin function fft_rtc_back_len864_factors_3_6_16_3_wgs_54_tpt_54_halfLds_dp_op_CI_CI_unitstride_sbrr_dirReg
	.globl	fft_rtc_back_len864_factors_3_6_16_3_wgs_54_tpt_54_halfLds_dp_op_CI_CI_unitstride_sbrr_dirReg
	.p2align	8
	.type	fft_rtc_back_len864_factors_3_6_16_3_wgs_54_tpt_54_halfLds_dp_op_CI_CI_unitstride_sbrr_dirReg,@function
fft_rtc_back_len864_factors_3_6_16_3_wgs_54_tpt_54_halfLds_dp_op_CI_CI_unitstride_sbrr_dirReg: ; @fft_rtc_back_len864_factors_3_6_16_3_wgs_54_tpt_54_halfLds_dp_op_CI_CI_unitstride_sbrr_dirReg
; %bb.0:
	s_load_dwordx4 s[12:15], s[4:5], 0x58
	s_load_dwordx4 s[8:11], s[4:5], 0x0
	;; [unrolled: 1-line block ×3, first 2 shown]
	v_mul_u32_u24_e32 v1, 0x4be, v0
	v_add_u32_sdwa v5, s6, v1 dst_sel:DWORD dst_unused:UNUSED_PAD src0_sel:DWORD src1_sel:WORD_1
	v_mov_b32_e32 v3, 0
	s_waitcnt lgkmcnt(0)
	v_cmp_lt_u64_e64 s[0:1], s[10:11], 2
	v_mov_b32_e32 v1, 0
	v_mov_b32_e32 v6, v3
	s_and_b64 vcc, exec, s[0:1]
	v_mov_b32_e32 v2, 0
	s_cbranch_vccnz .LBB0_8
; %bb.1:
	s_load_dwordx2 s[0:1], s[4:5], 0x10
	s_add_u32 s2, s18, 8
	s_addc_u32 s3, s19, 0
	s_add_u32 s6, s16, 8
	v_mov_b32_e32 v1, 0
	s_addc_u32 s7, s17, 0
	v_mov_b32_e32 v2, 0
	s_waitcnt lgkmcnt(0)
	s_add_u32 s20, s0, 8
	v_mov_b32_e32 v105, v2
	s_addc_u32 s21, s1, 0
	s_mov_b64 s[22:23], 1
	v_mov_b32_e32 v104, v1
.LBB0_2:                                ; =>This Inner Loop Header: Depth=1
	s_load_dwordx2 s[24:25], s[20:21], 0x0
                                        ; implicit-def: $vgpr106_vgpr107
	s_waitcnt lgkmcnt(0)
	v_or_b32_e32 v4, s25, v6
	v_cmp_ne_u64_e32 vcc, 0, v[3:4]
	s_and_saveexec_b64 s[0:1], vcc
	s_xor_b64 s[26:27], exec, s[0:1]
	s_cbranch_execz .LBB0_4
; %bb.3:                                ;   in Loop: Header=BB0_2 Depth=1
	v_cvt_f32_u32_e32 v4, s24
	v_cvt_f32_u32_e32 v7, s25
	s_sub_u32 s0, 0, s24
	s_subb_u32 s1, 0, s25
	v_mac_f32_e32 v4, 0x4f800000, v7
	v_rcp_f32_e32 v4, v4
	v_mul_f32_e32 v4, 0x5f7ffffc, v4
	v_mul_f32_e32 v7, 0x2f800000, v4
	v_trunc_f32_e32 v7, v7
	v_mac_f32_e32 v4, 0xcf800000, v7
	v_cvt_u32_f32_e32 v7, v7
	v_cvt_u32_f32_e32 v4, v4
	v_mul_lo_u32 v8, s0, v7
	v_mul_hi_u32 v9, s0, v4
	v_mul_lo_u32 v11, s1, v4
	v_mul_lo_u32 v10, s0, v4
	v_add_u32_e32 v8, v9, v8
	v_add_u32_e32 v8, v8, v11
	v_mul_hi_u32 v9, v4, v10
	v_mul_lo_u32 v11, v4, v8
	v_mul_hi_u32 v13, v4, v8
	v_mul_hi_u32 v12, v7, v10
	v_mul_lo_u32 v10, v7, v10
	v_mul_hi_u32 v14, v7, v8
	v_add_co_u32_e32 v9, vcc, v9, v11
	v_addc_co_u32_e32 v11, vcc, 0, v13, vcc
	v_mul_lo_u32 v8, v7, v8
	v_add_co_u32_e32 v9, vcc, v9, v10
	v_addc_co_u32_e32 v9, vcc, v11, v12, vcc
	v_addc_co_u32_e32 v10, vcc, 0, v14, vcc
	v_add_co_u32_e32 v8, vcc, v9, v8
	v_addc_co_u32_e32 v9, vcc, 0, v10, vcc
	v_add_co_u32_e32 v4, vcc, v4, v8
	v_addc_co_u32_e32 v7, vcc, v7, v9, vcc
	v_mul_lo_u32 v8, s0, v7
	v_mul_hi_u32 v9, s0, v4
	v_mul_lo_u32 v10, s1, v4
	v_mul_lo_u32 v11, s0, v4
	v_add_u32_e32 v8, v9, v8
	v_add_u32_e32 v8, v8, v10
	v_mul_lo_u32 v12, v4, v8
	v_mul_hi_u32 v13, v4, v11
	v_mul_hi_u32 v14, v4, v8
	v_mul_hi_u32 v10, v7, v11
	v_mul_lo_u32 v11, v7, v11
	v_mul_hi_u32 v9, v7, v8
	v_add_co_u32_e32 v12, vcc, v13, v12
	v_addc_co_u32_e32 v13, vcc, 0, v14, vcc
	v_mul_lo_u32 v8, v7, v8
	v_add_co_u32_e32 v11, vcc, v12, v11
	v_addc_co_u32_e32 v10, vcc, v13, v10, vcc
	v_addc_co_u32_e32 v9, vcc, 0, v9, vcc
	v_add_co_u32_e32 v8, vcc, v10, v8
	v_addc_co_u32_e32 v9, vcc, 0, v9, vcc
	v_add_co_u32_e32 v4, vcc, v4, v8
	v_addc_co_u32_e32 v9, vcc, v7, v9, vcc
	v_mad_u64_u32 v[7:8], s[0:1], v5, v9, 0
	v_mul_hi_u32 v10, v5, v4
	v_add_co_u32_e32 v11, vcc, v10, v7
	v_addc_co_u32_e32 v12, vcc, 0, v8, vcc
	v_mad_u64_u32 v[7:8], s[0:1], v6, v4, 0
	v_mad_u64_u32 v[9:10], s[0:1], v6, v9, 0
	v_add_co_u32_e32 v4, vcc, v11, v7
	v_addc_co_u32_e32 v4, vcc, v12, v8, vcc
	v_addc_co_u32_e32 v7, vcc, 0, v10, vcc
	v_add_co_u32_e32 v4, vcc, v4, v9
	v_addc_co_u32_e32 v9, vcc, 0, v7, vcc
	v_mul_lo_u32 v10, s25, v4
	v_mul_lo_u32 v11, s24, v9
	v_mad_u64_u32 v[7:8], s[0:1], s24, v4, 0
	v_add3_u32 v8, v8, v11, v10
	v_sub_u32_e32 v10, v6, v8
	v_mov_b32_e32 v11, s25
	v_sub_co_u32_e32 v7, vcc, v5, v7
	v_subb_co_u32_e64 v10, s[0:1], v10, v11, vcc
	v_subrev_co_u32_e64 v11, s[0:1], s24, v7
	v_subbrev_co_u32_e64 v10, s[0:1], 0, v10, s[0:1]
	v_cmp_le_u32_e64 s[0:1], s25, v10
	v_cndmask_b32_e64 v12, 0, -1, s[0:1]
	v_cmp_le_u32_e64 s[0:1], s24, v11
	v_cndmask_b32_e64 v11, 0, -1, s[0:1]
	v_cmp_eq_u32_e64 s[0:1], s25, v10
	v_cndmask_b32_e64 v10, v12, v11, s[0:1]
	v_add_co_u32_e64 v11, s[0:1], 2, v4
	v_addc_co_u32_e64 v12, s[0:1], 0, v9, s[0:1]
	v_add_co_u32_e64 v13, s[0:1], 1, v4
	v_addc_co_u32_e64 v14, s[0:1], 0, v9, s[0:1]
	v_subb_co_u32_e32 v8, vcc, v6, v8, vcc
	v_cmp_ne_u32_e64 s[0:1], 0, v10
	v_cmp_le_u32_e32 vcc, s25, v8
	v_cndmask_b32_e64 v10, v14, v12, s[0:1]
	v_cndmask_b32_e64 v12, 0, -1, vcc
	v_cmp_le_u32_e32 vcc, s24, v7
	v_cndmask_b32_e64 v7, 0, -1, vcc
	v_cmp_eq_u32_e32 vcc, s25, v8
	v_cndmask_b32_e32 v7, v12, v7, vcc
	v_cmp_ne_u32_e32 vcc, 0, v7
	v_cndmask_b32_e64 v7, v13, v11, s[0:1]
	v_cndmask_b32_e32 v107, v9, v10, vcc
	v_cndmask_b32_e32 v106, v4, v7, vcc
.LBB0_4:                                ;   in Loop: Header=BB0_2 Depth=1
	s_andn2_saveexec_b64 s[0:1], s[26:27]
	s_cbranch_execz .LBB0_6
; %bb.5:                                ;   in Loop: Header=BB0_2 Depth=1
	v_cvt_f32_u32_e32 v4, s24
	s_sub_i32 s26, 0, s24
	v_mov_b32_e32 v107, v3
	v_rcp_iflag_f32_e32 v4, v4
	v_mul_f32_e32 v4, 0x4f7ffffe, v4
	v_cvt_u32_f32_e32 v4, v4
	v_mul_lo_u32 v7, s26, v4
	v_mul_hi_u32 v7, v4, v7
	v_add_u32_e32 v4, v4, v7
	v_mul_hi_u32 v4, v5, v4
	v_mul_lo_u32 v7, v4, s24
	v_add_u32_e32 v8, 1, v4
	v_sub_u32_e32 v7, v5, v7
	v_subrev_u32_e32 v9, s24, v7
	v_cmp_le_u32_e32 vcc, s24, v7
	v_cndmask_b32_e32 v7, v7, v9, vcc
	v_cndmask_b32_e32 v4, v4, v8, vcc
	v_add_u32_e32 v8, 1, v4
	v_cmp_le_u32_e32 vcc, s24, v7
	v_cndmask_b32_e32 v106, v4, v8, vcc
.LBB0_6:                                ;   in Loop: Header=BB0_2 Depth=1
	s_or_b64 exec, exec, s[0:1]
	v_mul_lo_u32 v4, v107, s24
	v_mul_lo_u32 v9, v106, s25
	v_mad_u64_u32 v[7:8], s[0:1], v106, s24, 0
	s_load_dwordx2 s[0:1], s[6:7], 0x0
	s_load_dwordx2 s[24:25], s[2:3], 0x0
	v_add3_u32 v4, v8, v9, v4
	v_sub_co_u32_e32 v5, vcc, v5, v7
	v_subb_co_u32_e32 v4, vcc, v6, v4, vcc
	s_waitcnt lgkmcnt(0)
	v_mul_lo_u32 v6, s0, v4
	v_mul_lo_u32 v7, s1, v5
	v_mad_u64_u32 v[1:2], s[0:1], s0, v5, v[1:2]
	v_mul_lo_u32 v4, s24, v4
	v_mul_lo_u32 v8, s25, v5
	v_mad_u64_u32 v[104:105], s[0:1], s24, v5, v[104:105]
	s_add_u32 s22, s22, 1
	s_addc_u32 s23, s23, 0
	s_add_u32 s2, s2, 8
	v_add3_u32 v105, v8, v105, v4
	s_addc_u32 s3, s3, 0
	v_mov_b32_e32 v4, s10
	s_add_u32 s6, s6, 8
	v_mov_b32_e32 v5, s11
	s_addc_u32 s7, s7, 0
	v_cmp_ge_u64_e32 vcc, s[22:23], v[4:5]
	s_add_u32 s20, s20, 8
	v_add3_u32 v2, v7, v2, v6
	s_addc_u32 s21, s21, 0
	s_cbranch_vccnz .LBB0_9
; %bb.7:                                ;   in Loop: Header=BB0_2 Depth=1
	v_mov_b32_e32 v5, v106
	v_mov_b32_e32 v6, v107
	s_branch .LBB0_2
.LBB0_8:
	v_mov_b32_e32 v105, v2
	v_mov_b32_e32 v107, v6
	;; [unrolled: 1-line block ×4, first 2 shown]
.LBB0_9:
	s_load_dwordx2 s[0:1], s[4:5], 0x28
	s_lshl_b64 s[6:7], s[10:11], 3
	s_add_u32 s4, s18, s6
	s_addc_u32 s5, s19, s7
                                        ; implicit-def: $vgpr108
	s_waitcnt lgkmcnt(0)
	v_cmp_gt_u64_e64 s[2:3], s[0:1], v[106:107]
	v_cmp_le_u64_e32 vcc, s[0:1], v[106:107]
	s_and_saveexec_b64 s[0:1], vcc
	s_xor_b64 s[0:1], exec, s[0:1]
; %bb.10:
	s_mov_b32 s10, 0x4bda130
	v_mul_hi_u32 v1, v0, s10
	v_mul_u32_u24_e32 v1, 54, v1
	v_sub_u32_e32 v108, v0, v1
                                        ; implicit-def: $vgpr0
                                        ; implicit-def: $vgpr1_vgpr2
; %bb.11:
	s_or_saveexec_b64 s[0:1], s[0:1]
	s_load_dwordx2 s[4:5], s[4:5], 0x0
                                        ; implicit-def: $vgpr90_vgpr91
                                        ; implicit-def: $vgpr32_vgpr33
                                        ; implicit-def: $vgpr74_vgpr75
                                        ; implicit-def: $vgpr48_vgpr49
                                        ; implicit-def: $vgpr36_vgpr37
                                        ; implicit-def: $vgpr52_vgpr53
                                        ; implicit-def: $vgpr40_vgpr41
                                        ; implicit-def: $vgpr28_vgpr29
                                        ; implicit-def: $vgpr6_vgpr7
                                        ; implicit-def: $vgpr12_vgpr13
                                        ; implicit-def: $vgpr44_vgpr45
                                        ; implicit-def: $vgpr56_vgpr57
                                        ; implicit-def: $vgpr78_vgpr79
                                        ; implicit-def: $vgpr70_vgpr71
                                        ; implicit-def: $vgpr66_vgpr67
                                        ; implicit-def: $vgpr62_vgpr63
                                        ; implicit-def: $vgpr82_vgpr83
                                        ; implicit-def: $vgpr86_vgpr87
	s_xor_b64 exec, exec, s[0:1]
	s_cbranch_execz .LBB0_15
; %bb.12:
	s_add_u32 s6, s16, s6
	s_addc_u32 s7, s17, s7
	s_load_dwordx2 s[6:7], s[6:7], 0x0
	s_mov_b32 s10, 0x4bda130
	v_mul_hi_u32 v5, v0, s10
                                        ; implicit-def: $vgpr64_vgpr65
                                        ; implicit-def: $vgpr68_vgpr69
                                        ; implicit-def: $vgpr76_vgpr77
	s_waitcnt lgkmcnt(0)
	v_mul_lo_u32 v6, s7, v106
	v_mul_lo_u32 v7, s6, v107
	v_mad_u64_u32 v[3:4], s[6:7], s6, v106, 0
	v_mul_u32_u24_e32 v5, 54, v5
	v_sub_u32_e32 v108, v0, v5
	v_add3_u32 v4, v4, v7, v6
	v_lshlrev_b64 v[3:4], 4, v[3:4]
	v_mov_b32_e32 v0, s13
	v_add_co_u32_e32 v3, vcc, s12, v3
	v_addc_co_u32_e32 v4, vcc, v0, v4, vcc
	v_lshlrev_b64 v[0:1], 4, v[1:2]
	v_lshlrev_b32_e32 v6, 4, v108
	v_add_co_u32_e32 v5, vcc, v3, v0
	v_addc_co_u32_e32 v4, vcc, v4, v1, vcc
	v_add_co_u32_e32 v0, vcc, v5, v6
	v_addc_co_u32_e32 v1, vcc, 0, v4, vcc
	s_movk_i32 s6, 0x1000
	v_add_co_u32_e32 v2, vcc, s6, v0
	v_addc_co_u32_e32 v3, vcc, 0, v1, vcc
	v_or_b32_e32 v6, 0x2400, v6
	v_add_co_u32_e32 v8, vcc, v5, v6
	v_addc_co_u32_e32 v9, vcc, 0, v4, vcc
	s_movk_i32 s6, 0x2000
	v_add_co_u32_e32 v10, vcc, s6, v0
	v_addc_co_u32_e32 v11, vcc, 0, v1, vcc
	global_load_dwordx4 v[30:33], v[8:9], off
	global_load_dwordx4 v[34:37], v[10:11], off offset:1888
	global_load_dwordx4 v[46:49], v[2:3], off offset:1376
	;; [unrolled: 1-line block ×7, first 2 shown]
	v_add_co_u32_e32 v8, vcc, 0x3000, v0
	v_addc_co_u32_e32 v9, vcc, 0, v1, vcc
	global_load_dwordx4 v[54:57], v[8:9], off offset:384
	global_load_dwordx4 v[84:87], v[0:1], off
	global_load_dwordx4 v[72:75], v[0:1], off offset:864
	global_load_dwordx4 v[80:83], v[0:1], off offset:1728
	;; [unrolled: 1-line block ×5, first 2 shown]
	v_cmp_gt_u32_e32 vcc, 18, v108
	s_and_saveexec_b64 s[6:7], vcc
	s_cbranch_execz .LBB0_14
; %bb.13:
	v_add_co_u32_e32 v2, vcc, 0x1000, v0
	v_addc_co_u32_e32 v3, vcc, 0, v1, vcc
	v_add_co_u32_e32 v8, vcc, 0x2000, v0
	v_addc_co_u32_e32 v9, vcc, 0, v1, vcc
	;; [unrolled: 2-line block ×3, first 2 shown]
	global_load_dwordx4 v[64:67], v[2:3], off offset:224
	global_load_dwordx4 v[68:71], v[8:9], off offset:736
	global_load_dwordx4 v[76:79], v[0:1], off offset:1248
.LBB0_14:
	s_or_b64 exec, exec, s[6:7]
.LBB0_15:
	s_or_b64 exec, exec, s[0:1]
	s_waitcnt vmcnt(10)
	v_add_f64 v[0:1], v[50:51], v[38:39]
	s_waitcnt vmcnt(8)
	v_add_f64 v[8:9], v[26:27], v[4:5]
	v_add_f64 v[14:15], v[52:53], -v[40:41]
	s_waitcnt vmcnt(2)
	v_add_f64 v[16:17], v[26:27], v[60:61]
	v_add_f64 v[18:19], v[28:29], -v[6:7]
	s_mov_b32 s0, 0xe8584caa
	v_add_f64 v[2:3], v[50:51], v[80:81]
	s_mov_b32 s1, 0xbfebb67a
	v_fma_f64 v[0:1], v[0:1], -0.5, v[80:81]
	v_fma_f64 v[8:9], v[8:9], -0.5, v[60:61]
	s_mov_b32 s7, 0x3febb67a
	s_waitcnt vmcnt(1)
	v_add_f64 v[20:21], v[88:89], v[30:31]
	s_mov_b32 s6, s0
	v_add_f64 v[16:17], v[4:5], v[16:17]
	v_mad_u32_u24 v110, v108, 24, 0
	v_add_f64 v[2:3], v[38:39], v[2:3]
	v_fma_f64 v[24:25], v[14:15], s[0:1], v[0:1]
	v_fma_f64 v[58:59], v[18:19], s[0:1], v[8:9]
	;; [unrolled: 1-line block ×4, first 2 shown]
	v_add_u32_e32 v61, 0xf30, v110
	v_fma_f64 v[14:15], v[20:21], -0.5, v[84:85]
	v_add_u32_e32 v20, 0x800, v110
	v_add_f64 v[18:19], v[72:73], v[46:47]
	v_add_u32_e32 v60, 0xa20, v110
	ds_write2_b64 v61, v[16:17], v[58:59] offset1:1
	v_add_f64 v[16:17], v[46:47], v[34:35]
	ds_write2_b64 v20, v[0:1], v[8:9] offset0:70 offset1:232
	v_add_f64 v[0:1], v[42:43], v[54:55]
	s_waitcnt vmcnt(0)
	v_add_f64 v[20:21], v[76:77], v[68:69]
	v_add_f64 v[22:23], v[88:89], v[84:85]
	ds_write2_b64 v60, v[2:3], v[24:25] offset1:1
	v_add_f64 v[2:3], v[90:91], -v[32:33]
	v_add_f64 v[24:25], v[48:49], -v[36:37]
	v_fma_f64 v[16:17], v[16:17], -0.5, v[72:73]
	v_add_f64 v[58:59], v[18:19], v[34:35]
	v_add_f64 v[18:19], v[10:11], v[42:43]
	v_fma_f64 v[10:11], v[0:1], -0.5, v[10:11]
	v_add_f64 v[60:61], v[44:45], -v[56:57]
	v_add_f64 v[72:73], v[68:69], v[64:65]
	v_fma_f64 v[80:81], v[20:21], -0.5, v[64:65]
	v_add_f64 v[84:85], v[70:71], -v[78:79]
	v_add_f64 v[8:9], v[30:31], v[22:23]
	v_fma_f64 v[22:23], v[2:3], s[0:1], v[14:15]
	v_fma_f64 v[92:93], v[24:25], s[0:1], v[16:17]
	;; [unrolled: 1-line block ×4, first 2 shown]
	v_add_f64 v[0:1], v[18:19], v[54:55]
	v_fma_f64 v[2:3], v[60:61], s[0:1], v[10:11]
	v_fma_f64 v[18:19], v[60:61], s[6:7], v[10:11]
	v_add_f64 v[20:21], v[76:77], v[72:73]
	v_fma_f64 v[64:65], v[84:85], s[0:1], v[80:81]
	v_fma_f64 v[16:17], v[84:85], s[6:7], v[80:81]
	ds_write2_b64 v110, v[8:9], v[22:23] offset1:1
	ds_write2_b64 v110, v[58:59], v[92:93] offset0:162 offset1:163
	ds_write2_b64 v110, v[14:15], v[24:25] offset0:2 offset1:164
	v_add_u32_e32 v8, 0x1440, v110
	v_cmp_gt_u32_e64 s[0:1], 18, v108
	ds_write2_b64 v8, v[0:1], v[2:3] offset1:1
	ds_write_b64 v110, v[18:19] offset:5200
	s_and_saveexec_b64 s[6:7], s[0:1]
	s_cbranch_execz .LBB0_17
; %bb.16:
	v_add_u32_e32 v8, 0x1950, v110
	ds_write2_b64 v8, v[20:21], v[64:65] offset1:1
	ds_write_b64 v110, v[16:17] offset:6496
.LBB0_17:
	s_or_b64 exec, exec, s[6:7]
	v_lshlrev_b32_e32 v8, 4, v108
	v_sub_u32_e32 v109, v110, v8
	v_add_u32_e32 v14, 0x800, v109
	s_waitcnt lgkmcnt(0)
	; wave barrier
	s_waitcnt lgkmcnt(0)
	ds_read2_b64 v[8:11], v109 offset1:54
	ds_read2_b64 v[100:103], v109 offset0:144 offset1:198
	ds_read2_b64 v[96:99], v14 offset0:32 offset1:86
	;; [unrolled: 1-line block ×3, first 2 shown]
	v_add_u32_e32 v14, 0x1000, v109
	ds_read2_b64 v[58:61], v14 offset0:64 offset1:118
	v_add_u32_e32 v14, 0x1400, v109
	ds_read2_b64 v[22:25], v14 offset0:80 offset1:134
	v_cmp_gt_u32_e32 vcc, 36, v108
	s_and_saveexec_b64 s[6:7], vcc
	s_cbranch_execz .LBB0_19
; %bb.18:
	v_add_u32_e32 v0, 0xc00, v109
	ds_read2_b64 v[14:17], v14 offset0:44 offset1:188
	ds_read2_b64 v[18:21], v0 offset0:12 offset1:156
	;; [unrolled: 1-line block ×3, first 2 shown]
	s_waitcnt lgkmcnt(2)
	v_mov_b32_e32 v65, v15
	v_mov_b32_e32 v64, v14
.LBB0_19:
	s_or_b64 exec, exec, s[6:7]
	v_add_f64 v[14:15], v[90:91], v[32:33]
	v_add_f64 v[80:81], v[48:49], v[36:37]
	v_add_f64 v[30:31], v[88:89], -v[30:31]
	v_add_f64 v[84:85], v[52:53], v[40:41]
	v_add_f64 v[48:49], v[74:75], v[48:49]
	v_add_f64 v[34:35], v[46:47], -v[34:35]
	v_add_f64 v[46:47], v[52:53], v[82:83]
	s_mov_b32 s6, 0xe8584caa
	v_fma_f64 v[14:15], v[14:15], -0.5, v[86:87]
	v_fma_f64 v[52:53], v[80:81], -0.5, v[74:75]
	v_add_f64 v[72:73], v[90:91], v[86:87]
	s_mov_b32 s7, 0x3febb67a
	s_mov_b32 s11, 0xbfebb67a
	;; [unrolled: 1-line block ×3, first 2 shown]
	v_add_f64 v[36:37], v[48:49], v[36:37]
	v_add_f64 v[40:41], v[40:41], v[46:47]
	v_fma_f64 v[74:75], v[30:31], s[6:7], v[14:15]
	v_fma_f64 v[14:15], v[30:31], s[10:11], v[14:15]
	v_add_f64 v[30:31], v[28:29], v[6:7]
	v_fma_f64 v[48:49], v[34:35], s[6:7], v[52:53]
	v_fma_f64 v[34:35], v[34:35], s[10:11], v[52:53]
	v_add_f64 v[46:47], v[44:45], v[56:57]
	v_add_f64 v[52:53], v[78:79], v[70:71]
	;; [unrolled: 1-line block ×3, first 2 shown]
	v_fma_f64 v[72:73], v[84:85], -0.5, v[82:83]
	v_add_f64 v[38:39], v[50:51], -v[38:39]
	v_add_f64 v[28:29], v[28:29], v[62:63]
	v_fma_f64 v[30:31], v[30:31], -0.5, v[62:63]
	v_add_f64 v[4:5], v[26:27], -v[4:5]
	v_add_f64 v[26:27], v[12:13], v[44:45]
	;; [unrolled: 3-line block ×3, first 2 shown]
	v_fma_f64 v[46:47], v[52:53], -0.5, v[66:67]
	v_add_f64 v[52:53], v[68:69], -v[76:77]
	v_fma_f64 v[50:51], v[38:39], s[6:7], v[72:73]
	v_add_f64 v[62:63], v[6:7], v[28:29]
	v_fma_f64 v[66:67], v[4:5], s[6:7], v[30:31]
	v_fma_f64 v[38:39], v[38:39], s[10:11], v[72:73]
	;; [unrolled: 1-line block ×3, first 2 shown]
	v_add_f64 v[4:5], v[26:27], v[56:57]
	v_fma_f64 v[6:7], v[42:43], s[6:7], v[12:13]
	v_fma_f64 v[30:31], v[42:43], s[10:11], v[12:13]
	v_add_f64 v[56:57], v[78:79], v[44:45]
	v_fma_f64 v[54:55], v[52:53], s[6:7], v[46:47]
	v_fma_f64 v[28:29], v[52:53], s[10:11], v[46:47]
	v_add_u32_e32 v12, 0xa20, v110
	s_waitcnt lgkmcnt(0)
	; wave barrier
	s_waitcnt lgkmcnt(0)
	ds_write2_b64 v110, v[32:33], v[74:75] offset1:1
	ds_write2_b64 v110, v[36:37], v[48:49] offset0:162 offset1:163
	ds_write2_b64 v110, v[14:15], v[34:35] offset0:2 offset1:164
	ds_write2_b64 v12, v[40:41], v[50:51] offset1:1
	v_add_u32_e32 v12, 0xf30, v110
	ds_write2_b64 v12, v[62:63], v[66:67] offset1:1
	v_add_u32_e32 v12, 0x800, v110
	ds_write2_b64 v12, v[38:39], v[68:69] offset0:70 offset1:232
	v_add_u32_e32 v12, 0x1440, v110
	ds_write2_b64 v12, v[4:5], v[6:7] offset1:1
	ds_write_b64 v110, v[30:31] offset:5200
	s_and_saveexec_b64 s[6:7], s[0:1]
	s_cbranch_execz .LBB0_21
; %bb.20:
	v_add_u32_e32 v12, 0x1950, v110
	ds_write2_b64 v12, v[56:57], v[54:55] offset1:1
	ds_write_b64 v110, v[28:29] offset:6496
.LBB0_21:
	s_or_b64 exec, exec, s[6:7]
	v_add_u32_e32 v26, 0x800, v109
	s_waitcnt lgkmcnt(0)
	; wave barrier
	s_waitcnt lgkmcnt(0)
	ds_read2_b64 v[12:15], v109 offset1:54
	ds_read2_b64 v[50:53], v109 offset0:144 offset1:198
	ds_read2_b64 v[46:49], v26 offset0:32 offset1:86
	;; [unrolled: 1-line block ×3, first 2 shown]
	v_add_u32_e32 v26, 0x1000, v109
	ds_read2_b64 v[38:41], v26 offset0:64 offset1:118
	v_add_u32_e32 v26, 0x1400, v109
	ds_read2_b64 v[34:37], v26 offset0:80 offset1:134
	s_and_saveexec_b64 s[6:7], vcc
	s_cbranch_execz .LBB0_23
; %bb.22:
	v_add_u32_e32 v4, 0xc00, v109
	ds_read2_b64 v[26:29], v26 offset0:44 offset1:188
	ds_read2_b64 v[30:33], v4 offset0:12 offset1:156
	;; [unrolled: 1-line block ×3, first 2 shown]
	s_waitcnt lgkmcnt(2)
	v_mov_b32_e32 v55, v27
	s_waitcnt lgkmcnt(1)
	v_mov_b32_e32 v57, v33
	v_mov_b32_e32 v54, v26
	;; [unrolled: 1-line block ×3, first 2 shown]
.LBB0_23:
	s_or_b64 exec, exec, s[6:7]
	s_movk_i32 s6, 0xab
	v_mul_lo_u16_sdwa v26, v108, s6 dst_sel:DWORD dst_unused:UNUSED_PAD src0_sel:BYTE_0 src1_sel:DWORD
	v_lshrrev_b16_e32 v76, 9, v26
	v_mul_lo_u16_e32 v26, 3, v76
	v_sub_u16_e32 v77, v108, v26
	v_mov_b32_e32 v117, 5
	v_mul_u32_u24_sdwa v26, v77, v117 dst_sel:DWORD dst_unused:UNUSED_PAD src0_sel:BYTE_0 src1_sel:DWORD
	v_lshlrev_b32_e32 v118, 4, v26
	global_load_dwordx4 v[66:69], v118, s[8:9]
	v_add_u32_e32 v110, 54, v108
	v_mul_lo_u16_sdwa v26, v110, s6 dst_sel:DWORD dst_unused:UNUSED_PAD src0_sel:BYTE_0 src1_sel:DWORD
	v_lshrrev_b16_e32 v111, 9, v26
	v_mul_lo_u16_e32 v26, 3, v111
	v_sub_u16_e32 v112, v110, v26
	v_mul_u32_u24_sdwa v26, v112, v117 dst_sel:DWORD dst_unused:UNUSED_PAD src0_sel:BYTE_0 src1_sel:DWORD
	v_lshlrev_b32_e32 v119, 4, v26
	global_load_dwordx4 v[70:73], v119, s[8:9]
	global_load_dwordx4 v[78:81], v118, s[8:9] offset:16
	global_load_dwordx4 v[82:85], v119, s[8:9] offset:16
	;; [unrolled: 1-line block ×4, first 2 shown]
	s_mov_b32 s11, 0x3febb67a
	s_waitcnt vmcnt(5) lgkmcnt(4)
	v_mul_f64 v[26:27], v[50:51], v[68:69]
	v_mul_f64 v[32:33], v[100:101], v[68:69]
	s_waitcnt vmcnt(4)
	v_mul_f64 v[62:63], v[52:53], v[72:73]
	v_fma_f64 v[90:91], v[100:101], v[66:67], v[26:27]
	v_fma_f64 v[32:33], v[50:51], v[66:67], -v[32:33]
	global_load_dwordx4 v[66:69], v118, s[8:9] offset:48
	v_mul_f64 v[26:27], v[102:103], v[72:73]
	global_load_dwordx4 v[72:75], v119, s[8:9] offset:48
	v_fma_f64 v[101:102], v[102:103], v[70:71], v[62:63]
	s_waitcnt vmcnt(4) lgkmcnt(3)
	v_mul_f64 v[62:63], v[48:49], v[84:85]
	v_mul_f64 v[50:51], v[46:47], v[80:81]
	v_add_u32_e32 v100, 0x6c, v108
	v_fma_f64 v[26:27], v[52:53], v[70:71], -v[26:27]
	v_mul_f64 v[52:53], v[96:97], v[80:81]
	v_mul_f64 v[70:71], v[98:99], v[84:85]
	v_fma_f64 v[50:51], v[96:97], v[78:79], v[50:51]
	v_fma_f64 v[46:47], v[46:47], v[78:79], -v[52:53]
	global_load_dwordx4 v[78:81], v118, s[8:9] offset:64
	v_fma_f64 v[52:53], v[98:99], v[82:83], v[62:63]
	s_waitcnt vmcnt(4) lgkmcnt(2)
	v_mul_f64 v[62:63], v[42:43], v[88:89]
	v_fma_f64 v[48:49], v[48:49], v[82:83], -v[70:71]
	v_mul_lo_u16_sdwa v70, v100, s6 dst_sel:DWORD dst_unused:UNUSED_PAD src0_sel:BYTE_0 src1_sel:DWORD
	v_lshrrev_b16_e32 v96, 9, v70
	s_waitcnt vmcnt(3)
	v_mul_f64 v[70:71], v[44:45], v[115:116]
	v_mul_lo_u16_e32 v99, 3, v96
	v_mul_f64 v[88:89], v[92:93], v[88:89]
	global_load_dwordx4 v[82:85], v119, s[8:9] offset:64
	v_fma_f64 v[97:98], v[92:93], v[86:87], v[62:63]
	v_sub_u16_e32 v92, v100, v99
	v_mul_f64 v[62:63], v[94:95], v[115:116]
	s_mov_b32 s6, 0xe8584caa
	v_fma_f64 v[93:94], v[94:95], v[113:114], v[70:71]
	s_mov_b32 s7, 0xbfebb67a
	v_fma_f64 v[42:43], v[42:43], v[86:87], -v[88:89]
	s_mov_b32 s10, s6
	v_fma_f64 v[44:45], v[44:45], v[113:114], -v[62:63]
	s_waitcnt vmcnt(3) lgkmcnt(1)
	v_mul_f64 v[115:116], v[38:39], v[68:69]
	v_mul_f64 v[70:71], v[58:59], v[68:69]
	v_mul_u32_u24_sdwa v68, v92, v117 dst_sel:DWORD dst_unused:UNUSED_PAD src0_sel:BYTE_0 src1_sel:DWORD
	s_waitcnt vmcnt(2)
	v_mul_f64 v[117:118], v[40:41], v[74:75]
	v_lshlrev_b32_e32 v95, 4, v68
	global_load_dwordx4 v[86:89], v95, s[8:9]
	v_mul_f64 v[74:75], v[60:61], v[74:75]
	v_fma_f64 v[68:69], v[58:59], v[66:67], v[115:116]
	global_load_dwordx4 v[113:116], v95, s[8:9] offset:16
	v_fma_f64 v[62:63], v[38:39], v[66:67], -v[70:71]
	v_fma_f64 v[66:67], v[60:61], v[72:73], v[117:118]
	global_load_dwordx4 v[58:61], v95, s[8:9] offset:32
	v_fma_f64 v[40:41], v[40:41], v[72:73], -v[74:75]
	global_load_dwordx4 v[70:73], v95, s[8:9] offset:48
	global_load_dwordx4 v[117:120], v95, s[8:9] offset:64
	v_mov_b32_e32 v95, 3
	s_waitcnt lgkmcnt(0)
	; wave barrier
	s_waitcnt vmcnt(6) lgkmcnt(0)
	v_mul_f64 v[38:39], v[34:35], v[80:81]
	v_mul_f64 v[74:75], v[22:23], v[80:81]
	v_fma_f64 v[80:81], v[22:23], v[78:79], v[38:39]
	v_fma_f64 v[22:23], v[34:35], v[78:79], -v[74:75]
	s_waitcnt vmcnt(5)
	v_mul_f64 v[34:35], v[36:37], v[84:85]
	v_mul_f64 v[38:39], v[24:25], v[84:85]
	v_fma_f64 v[78:79], v[24:25], v[82:83], v[34:35]
	v_fma_f64 v[24:25], v[36:37], v[82:83], -v[38:39]
	s_waitcnt vmcnt(4)
	v_mul_f64 v[34:35], v[6:7], v[88:89]
	v_mul_f64 v[74:75], v[2:3], v[88:89]
	v_add_f64 v[88:89], v[48:49], -v[40:41]
	s_waitcnt vmcnt(3)
	v_mul_f64 v[36:37], v[30:31], v[115:116]
	v_mul_f64 v[82:83], v[18:19], v[115:116]
	v_add_f64 v[115:116], v[44:45], -v[24:25]
	s_waitcnt vmcnt(2)
	v_mul_f64 v[84:85], v[56:57], v[60:61]
	v_mul_f64 v[60:61], v[20:21], v[60:61]
	v_fma_f64 v[34:35], v[2:3], v[86:87], v[34:35]
	v_fma_f64 v[38:39], v[6:7], v[86:87], -v[74:75]
	s_waitcnt vmcnt(1)
	v_mul_f64 v[6:7], v[54:55], v[72:73]
	v_mul_f64 v[72:73], v[64:65], v[72:73]
	v_fma_f64 v[2:3], v[18:19], v[113:114], v[36:37]
	s_waitcnt vmcnt(0)
	v_mul_f64 v[74:75], v[16:17], v[119:120]
	v_fma_f64 v[18:19], v[20:21], v[58:59], v[84:85]
	v_add_f64 v[20:21], v[42:43], v[22:23]
	v_mul_f64 v[36:37], v[28:29], v[119:120]
	v_fma_f64 v[30:31], v[30:31], v[113:114], -v[82:83]
	v_fma_f64 v[6:7], v[64:65], v[70:71], v[6:7]
	v_fma_f64 v[54:55], v[54:55], v[70:71], -v[72:73]
	v_fma_f64 v[56:57], v[56:57], v[58:59], -v[60:61]
	v_fma_f64 v[70:71], v[28:29], v[117:118], -v[74:75]
	v_add_f64 v[28:29], v[97:98], v[80:81]
	v_add_f64 v[74:75], v[97:98], -v[80:81]
	v_fma_f64 v[20:21], v[20:21], -0.5, v[32:33]
	v_fma_f64 v[16:17], v[16:17], v[117:118], v[36:37]
	v_add_f64 v[60:61], v[50:51], v[68:69]
	v_add_f64 v[72:73], v[90:91], v[97:98]
	v_add_f64 v[82:83], v[42:43], -v[22:23]
	v_add_f64 v[58:59], v[8:9], v[50:51]
	v_fma_f64 v[90:91], v[28:29], -0.5, v[90:91]
	v_add_f64 v[64:65], v[46:47], -v[62:63]
	v_fma_f64 v[36:37], v[74:75], s[10:11], v[20:21]
	v_fma_f64 v[28:29], v[74:75], s[6:7], v[20:21]
	v_add_f64 v[74:75], v[44:45], v[24:25]
	v_add_f64 v[86:87], v[52:53], v[66:67]
	v_fma_f64 v[60:61], v[60:61], -0.5, v[8:9]
	v_add_f64 v[97:98], v[101:102], v[93:94]
	v_fma_f64 v[8:9], v[82:83], s[6:7], v[90:91]
	v_fma_f64 v[20:21], v[82:83], s[10:11], v[90:91]
	v_mul_f64 v[82:83], v[36:37], s[6:7]
	v_mul_f64 v[90:91], v[28:29], s[6:7]
	v_add_f64 v[113:114], v[93:94], v[78:79]
	v_add_f64 v[93:94], v[93:94], -v[78:79]
	v_add_f64 v[58:59], v[58:59], v[68:69]
	v_add_f64 v[72:73], v[72:73], v[80:81]
	v_fma_f64 v[74:75], v[74:75], -0.5, v[26:27]
	v_add_f64 v[84:85], v[10:11], v[52:53]
	v_fma_f64 v[80:81], v[86:87], -0.5, v[10:11]
	v_fma_f64 v[10:11], v[64:65], s[6:7], v[60:61]
	v_fma_f64 v[60:61], v[64:65], s[10:11], v[60:61]
	v_fma_f64 v[64:65], v[8:9], 0.5, v[82:83]
	v_fma_f64 v[82:83], v[20:21], -0.5, v[90:91]
	v_add_f64 v[117:118], v[56:57], v[70:71]
	v_fma_f64 v[86:87], v[113:114], -0.5, v[101:102]
	v_add_f64 v[90:91], v[58:59], v[72:73]
	v_add_f64 v[58:59], v[58:59], -v[72:73]
	v_fma_f64 v[72:73], v[93:94], s[10:11], v[74:75]
	v_fma_f64 v[74:75], v[93:94], s[6:7], v[74:75]
	v_add_f64 v[84:85], v[84:85], v[66:67]
	v_add_f64 v[119:120], v[60:61], v[82:83]
	v_add_f64 v[123:124], v[60:61], -v[82:83]
	v_add_f64 v[60:61], v[97:98], v[78:79]
	v_fma_f64 v[101:102], v[88:89], s[6:7], v[80:81]
	v_add_f64 v[113:114], v[10:11], v[64:65]
	v_add_f64 v[121:122], v[10:11], -v[64:65]
	v_fma_f64 v[10:11], v[115:116], s[6:7], v[86:87]
	v_add_f64 v[78:79], v[18:19], v[16:17]
	v_fma_f64 v[64:65], v[115:116], s[10:11], v[86:87]
	v_fma_f64 v[82:83], v[117:118], -0.5, v[38:39]
	v_add_f64 v[86:87], v[18:19], -v[16:17]
	v_mul_f64 v[97:98], v[72:73], s[6:7]
	v_mul_f64 v[115:116], v[74:75], s[6:7]
	v_fma_f64 v[88:89], v[88:89], s[10:11], v[80:81]
	v_add_f64 v[80:81], v[2:3], v[6:7]
	v_add_f64 v[127:128], v[84:85], v[60:61]
	v_add_f64 v[129:130], v[84:85], -v[60:61]
	v_mul_u32_u24_e32 v60, 0x90, v76
	v_lshlrev_b32_sdwa v61, v95, v77 dst_sel:DWORD dst_unused:UNUSED_PAD src0_sel:DWORD src1_sel:BYTE_0
	v_add3_u32 v93, 0, v60, v61
	v_fma_f64 v[117:118], v[78:79], -0.5, v[34:35]
	v_add_f64 v[125:126], v[56:57], -v[70:71]
	v_fma_f64 v[78:79], v[86:87], s[10:11], v[82:83]
	v_fma_f64 v[60:61], v[10:11], 0.5, v[97:98]
	v_fma_f64 v[84:85], v[64:65], -0.5, v[115:116]
	v_fma_f64 v[97:98], v[80:81], -0.5, v[0:1]
	ds_write2_b64 v93, v[90:91], v[113:114] offset1:3
	v_add_f64 v[90:91], v[30:31], -v[54:55]
	v_fma_f64 v[80:81], v[86:87], s[6:7], v[82:83]
	v_fma_f64 v[76:77], v[125:126], s[6:7], v[117:118]
	;; [unrolled: 1-line block ×3, first 2 shown]
	v_add_f64 v[113:114], v[101:102], v[60:61]
	v_add_f64 v[101:102], v[101:102], -v[60:61]
	v_add_f64 v[115:116], v[88:89], v[84:85]
	v_add_f64 v[131:132], v[88:89], -v[84:85]
	v_mul_f64 v[60:61], v[78:79], s[6:7]
	v_fma_f64 v[84:85], v[90:91], s[6:7], v[97:98]
	v_fma_f64 v[86:87], v[90:91], s[10:11], v[97:98]
	v_mul_f64 v[90:91], v[80:81], s[6:7]
	ds_write2_b64 v93, v[119:120], v[58:59] offset0:6 offset1:9
	v_mul_u32_u24_e32 v94, 0x90, v111
	v_lshlrev_b32_sdwa v97, v95, v112 dst_sel:DWORD dst_unused:UNUSED_PAD src0_sel:DWORD src1_sel:BYTE_0
	v_add3_u32 v94, 0, v94, v97
	v_fma_f64 v[88:89], v[76:77], 0.5, v[60:61]
	ds_write2_b64 v93, v[121:122], v[123:124] offset0:12 offset1:15
	ds_write2_b64 v94, v[127:128], v[113:114] offset1:3
	ds_write2_b64 v94, v[115:116], v[129:130] offset0:6 offset1:9
	ds_write2_b64 v94, v[101:102], v[131:132] offset0:12 offset1:15
	v_fma_f64 v[90:91], v[82:83], -0.5, v[90:91]
	v_add_f64 v[58:59], v[84:85], -v[88:89]
	v_add_f64 v[60:61], v[86:87], -v[90:91]
	s_and_saveexec_b64 s[12:13], vcc
	s_cbranch_execz .LBB0_25
; %bb.24:
	v_add_f64 v[0:1], v[0:1], v[2:3]
	v_add_f64 v[18:19], v[34:35], v[18:19]
	v_add_f64 v[34:35], v[84:85], v[88:89]
	v_add_f64 v[0:1], v[0:1], v[6:7]
	v_add_f64 v[16:17], v[18:19], v[16:17]
	v_add_f64 v[18:19], v[86:87], v[90:91]
	v_add_f64 v[84:85], v[0:1], v[16:17]
	v_add_f64 v[0:1], v[0:1], -v[16:17]
	v_mul_u32_u24_e32 v16, 0x90, v96
	v_lshlrev_b32_sdwa v17, v95, v92 dst_sel:DWORD dst_unused:UNUSED_PAD src0_sel:DWORD src1_sel:BYTE_0
	v_add3_u32 v16, 0, v16, v17
	ds_write2_b64 v16, v[84:85], v[34:35] offset1:3
	ds_write2_b64 v16, v[18:19], v[0:1] offset0:6 offset1:9
	ds_write2_b64 v16, v[58:59], v[60:61] offset0:12 offset1:15
.LBB0_25:
	s_or_b64 exec, exec, s[12:13]
	v_add_f64 v[0:1], v[46:47], v[62:63]
	v_add_f64 v[16:17], v[12:13], v[46:47]
	v_add_f64 v[18:19], v[50:51], -v[68:69]
	v_add_f64 v[32:33], v[32:33], v[42:43]
	v_mul_f64 v[34:35], v[36:37], 0.5
	v_mul_f64 v[28:29], v[28:29], -0.5
	v_add_f64 v[36:37], v[48:49], v[40:41]
	v_add_f64 v[42:43], v[52:53], -v[66:67]
	v_fma_f64 v[0:1], v[0:1], -0.5, v[12:13]
	v_add_f64 v[12:13], v[14:15], v[48:49]
	v_add_f64 v[16:17], v[16:17], v[62:63]
	;; [unrolled: 1-line block ×3, first 2 shown]
	v_fma_f64 v[8:9], v[8:9], s[10:11], v[34:35]
	v_fma_f64 v[20:21], v[20:21], s[10:11], v[28:29]
	v_fma_f64 v[14:15], v[36:37], -0.5, v[14:15]
	v_add_f64 v[2:3], v[2:3], -v[6:7]
	v_fma_f64 v[28:29], v[18:19], s[10:11], v[0:1]
	v_fma_f64 v[0:1], v[18:19], s[6:7], v[0:1]
	v_add_f64 v[18:19], v[30:31], v[54:55]
	v_add_f64 v[47:48], v[16:17], v[22:23]
	v_add_f64 v[49:50], v[16:17], -v[22:23]
	v_mul_f64 v[22:23], v[72:73], 0.5
	v_fma_f64 v[16:17], v[42:43], s[10:11], v[14:15]
	v_fma_f64 v[6:7], v[42:43], s[6:7], v[14:15]
	v_add_f64 v[51:52], v[28:29], v[8:9]
	v_add_f64 v[68:69], v[28:29], -v[8:9]
	v_fma_f64 v[18:19], v[18:19], -0.5, v[4:5]
	v_mul_f64 v[14:15], v[78:79], 0.5
	v_mul_f64 v[28:29], v[80:81], -0.5
	v_add_f64 v[8:9], v[26:27], v[44:45]
	v_mul_f64 v[26:27], v[74:75], -0.5
	v_add_f64 v[12:13], v[12:13], v[40:41]
	v_fma_f64 v[10:11], v[10:11], s[10:11], v[22:23]
	v_add_f64 v[66:67], v[0:1], v[20:21]
	v_fma_f64 v[32:33], v[2:3], s[10:11], v[18:19]
	v_fma_f64 v[40:41], v[2:3], s[6:7], v[18:19]
	;; [unrolled: 1-line block ×4, first 2 shown]
	v_add_f64 v[8:9], v[8:9], v[24:25]
	v_fma_f64 v[22:23], v[64:65], s[10:11], v[26:27]
	v_lshl_add_u32 v101, v108, 3, 0
	v_add_f64 v[72:73], v[0:1], -v[20:21]
	v_add_u32_e32 v46, 0x400, v101
	v_add_u32_e32 v102, 0x800, v109
	v_add_f64 v[62:63], v[32:33], -v[42:43]
	v_add_f64 v[64:65], v[40:41], -v[44:45]
	v_add_u32_e32 v103, 0x1000, v109
	v_add_u32_e32 v111, 0x1400, v109
	v_add_f64 v[74:75], v[12:13], v[8:9]
	v_add_f64 v[76:77], v[16:17], v[10:11]
	;; [unrolled: 1-line block ×3, first 2 shown]
	v_add_f64 v[80:81], v[12:13], -v[8:9]
	v_add_f64 v[82:83], v[16:17], -v[10:11]
	;; [unrolled: 1-line block ×3, first 2 shown]
	s_waitcnt lgkmcnt(0)
	; wave barrier
	s_waitcnt lgkmcnt(0)
	ds_read2_b64 v[6:9], v109 offset1:54
	ds_read2_b64 v[34:37], v101 offset0:108 offset1:162
	ds_read2_b64 v[26:29], v46 offset0:88 offset1:142
	;; [unrolled: 1-line block ×7, first 2 shown]
	s_waitcnt lgkmcnt(0)
	; wave barrier
	s_waitcnt lgkmcnt(0)
	ds_write2_b64 v93, v[47:48], v[51:52] offset1:3
	ds_write2_b64 v93, v[66:67], v[49:50] offset0:6 offset1:9
	ds_write2_b64 v93, v[68:69], v[72:73] offset0:12 offset1:15
	ds_write2_b64 v94, v[74:75], v[76:77] offset1:3
	ds_write2_b64 v94, v[78:79], v[80:81] offset0:6 offset1:9
	ds_write2_b64 v94, v[82:83], v[84:85] offset0:12 offset1:15
	s_and_saveexec_b64 s[6:7], vcc
	s_cbranch_execz .LBB0_27
; %bb.26:
	v_add_f64 v[4:5], v[4:5], v[30:31]
	v_add_f64 v[30:31], v[38:39], v[56:57]
	;; [unrolled: 1-line block ×7, first 2 shown]
	v_add_f64 v[4:5], v[4:5], -v[30:31]
	v_mov_b32_e32 v31, 3
	v_mul_u32_u24_e32 v30, 0x90, v96
	v_lshlrev_b32_sdwa v31, v31, v92 dst_sel:DWORD dst_unused:UNUSED_PAD src0_sel:DWORD src1_sel:BYTE_0
	v_add3_u32 v30, 0, v30, v31
	ds_write2_b64 v30, v[40:41], v[32:33] offset1:3
	ds_write2_b64 v30, v[38:39], v[4:5] offset0:6 offset1:9
	ds_write2_b64 v30, v[62:63], v[64:65] offset0:12 offset1:15
.LBB0_27:
	s_or_b64 exec, exec, s[6:7]
	v_mov_b32_e32 v4, 57
	v_mul_lo_u16_sdwa v4, v108, v4 dst_sel:DWORD dst_unused:UNUSED_PAD src0_sel:BYTE_0 src1_sel:DWORD
	v_lshrrev_b16_e32 v4, 10, v4
	v_mul_lo_u16_e32 v5, 18, v4
	v_sub_u16_e32 v5, v108, v5
	v_mov_b32_e32 v30, 15
	v_mul_u32_u24_sdwa v30, v5, v30 dst_sel:DWORD dst_unused:UNUSED_PAD src0_sel:BYTE_0 src1_sel:DWORD
	v_lshlrev_b32_e32 v55, 4, v30
	s_waitcnt lgkmcnt(0)
	; wave barrier
	s_waitcnt lgkmcnt(0)
	global_load_dwordx4 v[38:41], v55, s[8:9] offset:256
	global_load_dwordx4 v[42:45], v55, s[8:9] offset:272
	;; [unrolled: 1-line block ×15, first 2 shown]
	ds_read2_b64 v[120:123], v101 offset0:108 offset1:162
	ds_read2_b64 v[124:127], v46 offset0:88 offset1:142
	s_mov_b32 s18, 0x667f3bcd
	s_mov_b32 s19, 0x3fe6a09e
	;; [unrolled: 1-line block ×10, first 2 shown]
	v_mul_u32_u24_e32 v4, 0x120, v4
	v_or_b32_sdwa v4, v4, v5 dst_sel:DWORD dst_unused:UNUSED_PAD src0_sel:DWORD src1_sel:BYTE_0
	s_waitcnt vmcnt(14) lgkmcnt(1)
	v_mul_f64 v[55:56], v[120:121], v[40:41]
	v_mul_f64 v[40:41], v[34:35], v[40:41]
	s_waitcnt vmcnt(13)
	v_mul_f64 v[98:99], v[122:123], v[44:45]
	v_mul_f64 v[44:45], v[36:37], v[44:45]
	v_fma_f64 v[55:56], v[34:35], v[38:39], v[55:56]
	v_fma_f64 v[128:129], v[120:121], v[38:39], -v[40:41]
	s_waitcnt vmcnt(12) lgkmcnt(0)
	v_mul_f64 v[38:39], v[124:125], v[49:50]
	v_mul_f64 v[40:41], v[26:27], v[49:50]
	v_fma_f64 v[49:50], v[36:37], v[42:43], v[98:99]
	s_waitcnt vmcnt(11)
	v_mul_f64 v[98:99], v[126:127], v[53:54]
	v_fma_f64 v[130:131], v[122:123], v[42:43], -v[44:45]
	ds_read2_b64 v[120:123], v102 offset0:68 offset1:122
	v_mul_f64 v[44:45], v[28:29], v[53:54]
	ds_read2_b64 v[34:37], v109 offset1:54
	v_fma_f64 v[53:54], v[26:27], v[47:48], v[38:39]
	v_fma_f64 v[42:43], v[124:125], v[47:48], -v[40:41]
	s_waitcnt vmcnt(10) lgkmcnt(1)
	v_mul_f64 v[46:47], v[120:121], v[68:69]
	v_mul_f64 v[68:69], v[22:23], v[68:69]
	s_waitcnt vmcnt(9)
	v_mul_f64 v[124:125], v[122:123], v[72:73]
	v_fma_f64 v[98:99], v[28:29], v[51:52], v[98:99]
	ds_read2_b64 v[26:29], v103 offset0:28 offset1:82
	v_fma_f64 v[51:52], v[126:127], v[51:52], -v[44:45]
	v_mul_f64 v[44:45], v[24:25], v[72:73]
	ds_read2_b64 v[38:41], v102 offset0:176 offset1:230
	v_fma_f64 v[72:73], v[22:23], v[66:67], v[46:47]
	v_fma_f64 v[66:67], v[120:121], v[66:67], -v[68:69]
	s_waitcnt vmcnt(8) lgkmcnt(1)
	v_mul_f64 v[68:69], v[26:27], v[76:77]
	v_mul_f64 v[76:77], v[18:19], v[76:77]
	v_fma_f64 v[120:121], v[24:25], v[70:71], v[124:125]
	s_waitcnt vmcnt(7)
	v_mul_f64 v[124:125], v[28:29], v[80:81]
	v_mul_f64 v[80:81], v[20:21], v[80:81]
	v_fma_f64 v[70:71], v[122:123], v[70:71], -v[44:45]
	ds_read2_b64 v[22:25], v103 offset0:136 offset1:190
	ds_read2_b64 v[44:47], v111 offset0:116 offset1:170
	s_waitcnt lgkmcnt(0)
	v_fma_f64 v[18:19], v[18:19], v[74:75], v[68:69]
	v_fma_f64 v[26:27], v[26:27], v[74:75], -v[76:77]
	s_waitcnt vmcnt(6)
	v_mul_f64 v[68:69], v[36:37], v[84:85]
	v_mul_f64 v[74:75], v[8:9], v[84:85]
	v_fma_f64 v[20:21], v[20:21], v[78:79], v[124:125]
	v_fma_f64 v[28:29], v[28:29], v[78:79], -v[80:81]
	s_waitcnt vmcnt(4)
	v_mul_f64 v[78:79], v[2:3], v[88:89]
	v_mul_f64 v[76:77], v[38:39], v[32:33]
	;; [unrolled: 1-line block ×3, first 2 shown]
	s_waitcnt vmcnt(3)
	v_mul_f64 v[80:81], v[22:23], v[92:93]
	v_mul_f64 v[88:89], v[14:15], v[92:93]
	v_fma_f64 v[8:9], v[8:9], v[82:83], v[68:69]
	v_fma_f64 v[68:69], v[36:37], v[82:83], -v[74:75]
	s_waitcnt vmcnt(2)
	v_mul_f64 v[36:37], v[16:17], v[96:97]
	s_waitcnt vmcnt(1)
	v_mul_f64 v[74:75], v[44:45], v[114:115]
	v_fma_f64 v[78:79], v[40:41], v[86:87], -v[78:79]
	v_mul_f64 v[40:41], v[10:11], v[114:115]
	s_waitcnt vmcnt(0)
	v_mul_f64 v[82:83], v[46:47], v[118:119]
	v_mul_f64 v[92:93], v[24:25], v[96:97]
	v_fma_f64 v[14:15], v[14:15], v[90:91], v[80:81]
	v_fma_f64 v[22:23], v[22:23], v[90:91], -v[88:89]
	v_mul_f64 v[80:81], v[12:13], v[118:119]
	v_fma_f64 v[76:77], v[0:1], v[30:31], v[76:77]
	v_fma_f64 v[24:25], v[24:25], v[94:95], -v[36:37]
	v_fma_f64 v[10:11], v[10:11], v[112:113], v[74:75]
	v_fma_f64 v[44:45], v[44:45], v[112:113], -v[40:41]
	v_fma_f64 v[12:13], v[12:13], v[116:117], v[82:83]
	v_fma_f64 v[2:3], v[2:3], v[86:87], v[84:85]
	;; [unrolled: 1-line block ×3, first 2 shown]
	v_fma_f64 v[46:47], v[46:47], v[116:117], -v[80:81]
	v_add_f64 v[74:75], v[6:7], -v[76:77]
	v_add_f64 v[36:37], v[53:54], -v[14:15]
	;; [unrolled: 1-line block ×14, first 2 shown]
	v_fma_f64 v[6:7], v[6:7], 2.0, -v[74:75]
	v_fma_f64 v[46:47], v[53:54], 2.0, -v[36:37]
	;; [unrolled: 1-line block ×10, first 2 shown]
	v_add_f64 v[90:91], v[74:75], v[40:41]
	v_add_f64 v[22:23], v[14:15], v[22:23]
	v_add_f64 v[28:29], v[130:131], -v[28:29]
	v_fma_f64 v[8:9], v[8:9], 2.0, -v[2:3]
	v_fma_f64 v[72:73], v[98:99], 2.0, -v[16:17]
	v_add_f64 v[82:83], v[6:7], -v[46:47]
	v_add_f64 v[46:47], v[54:55], -v[56:57]
	;; [unrolled: 1-line block ×4, first 2 shown]
	v_fma_f64 v[50:51], v[74:75], 2.0, -v[90:91]
	v_add_f64 v[52:53], v[44:45], -v[66:67]
	v_fma_f64 v[14:15], v[14:15], 2.0, -v[22:23]
	v_add_f64 v[24:25], v[2:3], v[24:25]
	v_add_f64 v[66:67], v[48:49], -v[80:81]
	v_add_f64 v[80:81], v[20:21], v[76:77]
	v_add_f64 v[92:93], v[8:9], -v[72:73]
	v_fma_f64 v[6:7], v[6:7], 2.0, -v[82:83]
	v_fma_f64 v[54:55], v[54:55], 2.0, -v[46:47]
	;; [unrolled: 1-line block ×3, first 2 shown]
	v_add_f64 v[16:17], v[26:27], -v[16:17]
	v_add_f64 v[12:13], v[28:29], -v[12:13]
	v_fma_f64 v[56:57], v[14:15], s[12:13], v[50:51]
	v_fma_f64 v[2:3], v[2:3], 2.0, -v[24:25]
	v_fma_f64 v[20:21], v[20:21], 2.0, -v[80:81]
	v_fma_f64 v[78:79], v[130:131], 2.0, -v[28:29]
	v_fma_f64 v[70:71], v[70:71], 2.0, -v[76:77]
	v_fma_f64 v[8:9], v[8:9], 2.0, -v[92:93]
	v_fma_f64 v[26:27], v[26:27], 2.0, -v[16:17]
	v_add_f64 v[96:97], v[6:7], -v[54:55]
	v_fma_f64 v[54:55], v[48:49], 2.0, -v[66:67]
	v_fma_f64 v[28:29], v[28:29], 2.0, -v[12:13]
	v_fma_f64 v[98:99], v[18:19], s[18:19], v[56:57]
	v_fma_f64 v[48:49], v[22:23], s[18:19], v[90:91]
	;; [unrolled: 1-line block ×3, first 2 shown]
	v_add_f64 v[70:71], v[78:79], -v[70:71]
	v_mul_f64 v[76:77], v[14:15], s[18:19]
	v_mul_f64 v[84:85], v[18:19], s[18:19]
	;; [unrolled: 1-line block ×3, first 2 shown]
	v_fma_f64 v[14:15], v[28:29], s[12:13], v[26:27]
	v_fma_f64 v[18:19], v[50:51], 2.0, -v[98:99]
	v_fma_f64 v[114:115], v[10:11], s[18:19], v[48:49]
	v_fma_f64 v[48:49], v[28:29], s[18:19], v[56:57]
	v_add_f64 v[50:51], v[8:9], -v[54:55]
	v_fma_f64 v[10:11], v[80:81], s[18:19], v[24:25]
	v_add_f64 v[112:113], v[82:83], v[52:53]
	v_fma_f64 v[68:69], v[68:69], 2.0, -v[94:95]
	v_fma_f64 v[54:55], v[20:21], s[12:13], v[14:15]
	v_add_f64 v[20:21], v[92:93], v[70:71]
	v_fma_f64 v[72:73], v[78:79], 2.0, -v[70:71]
	v_fma_f64 v[56:57], v[2:3], 2.0, -v[48:49]
	;; [unrolled: 1-line block ×3, first 2 shown]
	v_fma_f64 v[8:9], v[12:13], s[18:19], v[16:17]
	v_fma_f64 v[74:75], v[12:13], s[18:19], v[10:11]
	v_fma_f64 v[116:117], v[82:83], 2.0, -v[112:113]
	v_fma_f64 v[14:15], v[90:91], 2.0, -v[114:115]
	v_add_f64 v[12:13], v[94:95], -v[66:67]
	v_fma_f64 v[6:7], v[6:7], 2.0, -v[96:97]
	v_add_f64 v[90:91], v[68:69], -v[72:73]
	v_fma_f64 v[72:73], v[26:27], 2.0, -v[54:55]
	v_fma_f64 v[80:81], v[80:81], s[12:13], v[8:9]
	v_fma_f64 v[8:9], v[92:93], 2.0, -v[20:21]
	v_fma_f64 v[78:79], v[24:25], 2.0, -v[74:75]
	v_fma_f64 v[10:11], v[56:57], s[6:7], v[18:19]
	v_mul_f64 v[86:87], v[22:23], s[18:19]
	v_fma_f64 v[22:23], v[94:95], 2.0, -v[12:13]
	v_fma_f64 v[26:27], v[48:49], s[10:11], v[98:99]
	v_fma_f64 v[28:29], v[20:21], s[18:19], v[112:113]
	v_fma_f64 v[82:83], v[16:17], 2.0, -v[80:81]
	v_fma_f64 v[16:17], v[8:9], s[12:13], v[116:117]
	s_mov_b32 s13, 0xbfd87de2
	s_mov_b32 s12, s10
	v_fma_f64 v[24:25], v[78:79], s[12:13], v[14:15]
	v_fma_f64 v[66:67], v[74:75], s[16:17], v[114:115]
	v_add_f64 v[2:3], v[6:7], -v[2:3]
	v_fma_f64 v[10:11], v[72:73], s[10:11], v[10:11]
	v_add_f64 v[70:71], v[96:97], v[90:91]
	v_fma_f64 v[16:17], v[22:23], s[18:19], v[16:17]
	v_fma_f64 v[26:27], v[54:55], s[16:17], v[26:27]
	v_mul_f64 v[92:93], v[8:9], s[18:19]
	v_fma_f64 v[24:25], v[82:83], s[16:17], v[24:25]
	v_fma_f64 v[8:9], v[12:13], s[18:19], v[28:29]
	;; [unrolled: 1-line block ×3, first 2 shown]
	v_fma_f64 v[6:7], v[6:7], 2.0, -v[2:3]
	v_fma_f64 v[18:19], v[18:19], 2.0, -v[10:11]
	v_mul_f64 v[94:95], v[22:23], s[18:19]
	v_fma_f64 v[22:23], v[116:117], 2.0, -v[16:17]
	v_fma_f64 v[28:29], v[96:97], 2.0, -v[70:71]
	v_fma_f64 v[14:15], v[14:15], 2.0, -v[24:25]
	v_fma_f64 v[116:117], v[98:99], 2.0, -v[26:27]
	v_mul_f64 v[96:97], v[20:21], s[18:19]
	v_mul_f64 v[98:99], v[12:13], s[18:19]
	v_fma_f64 v[12:13], v[112:113], 2.0, -v[8:9]
	v_fma_f64 v[20:21], v[114:115], 2.0, -v[66:67]
	v_lshl_add_u32 v112, v4, 3, 0
	; wave barrier
	ds_write2_b64 v112, v[6:7], v[18:19] offset1:18
	ds_write2_b64 v112, v[22:23], v[14:15] offset0:36 offset1:54
	ds_write2_b64 v112, v[28:29], v[116:117] offset0:72 offset1:90
	;; [unrolled: 1-line block ×6, first 2 shown]
	v_add_u32_e32 v2, 0x400, v112
	v_add_u32_e32 v113, 0xc00, v109
	ds_write2_b64 v2, v[8:9], v[66:67] offset0:124 offset1:142
	s_waitcnt lgkmcnt(0)
	; wave barrier
	s_waitcnt lgkmcnt(0)
	ds_read2_b64 v[2:5], v109 offset1:54
	ds_read2_b64 v[6:9], v102 offset0:32 offset1:86
	ds_read2_b64 v[10:13], v113 offset0:120 offset1:192
	;; [unrolled: 1-line block ×6, first 2 shown]
	ds_read_b64 v[70:71], v101 offset:1728
	s_and_saveexec_b64 s[18:19], s[0:1]
	s_cbranch_execz .LBB0_29
; %bb.28:
	ds_read_b64 v[58:59], v109 offset:4464
	ds_read_b64 v[66:67], v101 offset:2160
	;; [unrolled: 1-line block ×3, first 2 shown]
.LBB0_29:
	s_or_b64 exec, exec, s[18:19]
	v_mul_f64 v[0:1], v[0:1], v[32:33]
	v_fma_f64 v[32:33], v[42:43], 2.0, -v[40:41]
	v_fma_f64 v[40:41], v[44:45], 2.0, -v[52:53]
	;; [unrolled: 1-line block ×3, first 2 shown]
	s_waitcnt lgkmcnt(0)
	; wave barrier
	s_waitcnt lgkmcnt(0)
	v_fma_f64 v[0:1], v[38:39], v[30:31], -v[0:1]
	v_add_f64 v[0:1], v[34:35], -v[0:1]
	v_add_f64 v[30:31], v[0:1], -v[36:37]
	v_fma_f64 v[34:35], v[34:35], 2.0, -v[0:1]
	v_fma_f64 v[0:1], v[0:1], 2.0, -v[30:31]
	v_add_f64 v[32:33], v[34:35], -v[32:33]
	v_add_f64 v[36:37], v[30:31], v[88:89]
	v_add_f64 v[38:39], v[0:1], -v[84:85]
	v_add_f64 v[44:45], v[32:33], -v[46:47]
	;; [unrolled: 1-line block ×3, first 2 shown]
	v_fma_f64 v[34:35], v[34:35], 2.0, -v[32:33]
	v_add_u32_e32 v84, 0x400, v112
	v_add_u32_e32 v85, 0x800, v109
	;; [unrolled: 1-line block ×4, first 2 shown]
	v_add_f64 v[38:39], v[38:39], -v[76:77]
	v_fma_f64 v[32:33], v[32:33], 2.0, -v[44:45]
	v_fma_f64 v[30:31], v[30:31], 2.0, -v[36:37]
	v_add_f64 v[40:41], v[34:35], -v[40:41]
	v_fma_f64 v[52:53], v[80:81], s[16:17], v[36:37]
	v_fma_f64 v[46:47], v[0:1], 2.0, -v[38:39]
	v_add_f64 v[0:1], v[44:45], v[98:99]
	v_add_f64 v[68:69], v[32:33], -v[94:95]
	v_fma_f64 v[76:77], v[82:83], s[12:13], v[30:31]
	v_fma_f64 v[54:55], v[54:55], s[10:11], v[38:39]
	v_fma_f64 v[34:35], v[34:35], 2.0, -v[40:41]
	v_add_f64 v[50:51], v[40:41], -v[50:51]
	v_fma_f64 v[72:73], v[72:73], s[6:7], v[46:47]
	v_add_f64 v[80:81], v[0:1], -v[96:97]
	v_fma_f64 v[0:1], v[74:75], s[12:13], v[52:53]
	;; [unrolled: 2-line block ×3, first 2 shown]
	v_fma_f64 v[48:49], v[48:49], s[6:7], v[54:55]
	v_add_f64 v[42:43], v[34:35], -v[42:43]
	v_fma_f64 v[40:41], v[40:41], 2.0, -v[50:51]
	v_fma_f64 v[54:55], v[56:57], s[12:13], v[72:73]
	v_fma_f64 v[44:45], v[44:45], 2.0, -v[80:81]
	v_fma_f64 v[36:37], v[36:37], 2.0, -v[0:1]
	;; [unrolled: 1-line block ×7, first 2 shown]
	ds_write2_b64 v84, v[80:81], v[0:1] offset0:124 offset1:142
	ds_write2_b64 v112, v[44:45], v[36:37] offset0:108 offset1:126
	;; [unrolled: 1-line block ×7, first 2 shown]
	ds_write2_b64 v112, v[34:35], v[46:47] offset1:18
	s_waitcnt lgkmcnt(0)
	; wave barrier
	s_waitcnt lgkmcnt(0)
	ds_read2_b64 v[30:33], v109 offset1:54
	ds_read2_b64 v[34:37], v85 offset0:32 offset1:86
	ds_read2_b64 v[38:41], v113 offset0:120 offset1:192
	;; [unrolled: 1-line block ×6, first 2 shown]
	ds_read_b64 v[72:73], v101 offset:1728
	s_and_saveexec_b64 s[6:7], s[0:1]
	s_cbranch_execz .LBB0_31
; %bb.30:
	ds_read_b64 v[62:63], v109 offset:4464
	ds_read_b64 v[0:1], v101 offset:2160
	ds_read_b64 v[64:65], v109 offset:6768
.LBB0_31:
	s_or_b64 exec, exec, s[6:7]
	s_and_saveexec_b64 s[6:7], s[2:3]
	s_cbranch_execz .LBB0_34
; %bb.32:
	v_lshlrev_b32_e32 v102, 1, v108
	v_add_u32_e32 v68, 0x1b0, v102
	v_mov_b32_e32 v69, 0
	v_lshlrev_b64 v[74:75], 4, v[68:69]
	v_mov_b32_e32 v117, s9
	v_add_co_u32_e32 v68, vcc, s8, v74
	v_addc_co_u32_e32 v74, vcc, v117, v75, vcc
	s_movk_i32 s2, 0x11d0
	v_add_co_u32_e32 v82, vcc, s2, v68
	v_addc_co_u32_e32 v83, vcc, 0, v74, vcc
	s_movk_i32 s6, 0x1000
	v_add_co_u32_e32 v84, vcc, s6, v68
	v_addc_co_u32_e32 v85, vcc, 0, v74, vcc
	global_load_dwordx4 v[74:77], v[84:85], off offset:464
	global_load_dwordx4 v[78:81], v[82:83], off offset:16
	v_add_u32_e32 v68, 0x144, v102
	v_lshlrev_b64 v[82:83], 4, v[68:69]
	v_mov_b32_e32 v103, v69
	v_add_co_u32_e32 v68, vcc, s8, v82
	v_addc_co_u32_e32 v87, vcc, v117, v83, vcc
	v_add_co_u32_e32 v82, vcc, s6, v68
	v_addc_co_u32_e32 v83, vcc, 0, v87, vcc
	global_load_dwordx4 v[82:85], v[82:83], off offset:464
	v_add_co_u32_e32 v86, vcc, s2, v68
	v_addc_co_u32_e32 v87, vcc, 0, v87, vcc
	global_load_dwordx4 v[86:89], v[86:87], off offset:16
	v_lshlrev_b32_e32 v68, 1, v100
	v_lshlrev_b64 v[90:91], 4, v[68:69]
	v_lshlrev_b64 v[102:103], 4, v[102:103]
	v_add_co_u32_e32 v68, vcc, s8, v90
	v_addc_co_u32_e32 v90, vcc, v117, v91, vcc
	v_add_co_u32_e32 v98, vcc, s2, v68
	v_addc_co_u32_e32 v99, vcc, 0, v90, vcc
	;; [unrolled: 2-line block ×3, first 2 shown]
	global_load_dwordx4 v[90:93], v[100:101], off offset:464
	global_load_dwordx4 v[94:97], v[98:99], off offset:16
	v_lshlrev_b32_e32 v68, 1, v110
	v_lshlrev_b64 v[98:99], 4, v[68:69]
	s_mov_b32 s10, 0x38e38e39
	v_add_co_u32_e32 v68, vcc, s8, v98
	v_addc_co_u32_e32 v98, vcc, v117, v99, vcc
	v_add_co_u32_e32 v113, vcc, s2, v68
	v_addc_co_u32_e32 v114, vcc, 0, v98, vcc
	;; [unrolled: 2-line block ×3, first 2 shown]
	global_load_dwordx4 v[98:101], v[115:116], off offset:464
	global_load_dwordx4 v[109:112], v[113:114], off offset:16
	v_add_co_u32_e32 v68, vcc, s8, v102
	v_addc_co_u32_e32 v113, vcc, v117, v103, vcc
	v_add_co_u32_e32 v102, vcc, s2, v68
	v_addc_co_u32_e32 v103, vcc, 0, v113, vcc
	v_add_co_u32_e32 v121, vcc, s6, v68
	v_addc_co_u32_e32 v122, vcc, 0, v113, vcc
	global_load_dwordx4 v[113:116], v[121:122], off offset:464
	global_load_dwordx4 v[117:120], v[102:103], off offset:16
	v_mul_lo_u32 v68, s5, v106
	v_mul_lo_u32 v121, s4, v107
	v_mad_u64_u32 v[102:103], s[2:3], s4, v106, 0
	s_mov_b32 s2, 0xe8584caa
	s_mov_b32 s3, 0xbfebb67a
	;; [unrolled: 1-line block ×4, first 2 shown]
	v_add3_u32 v103, v103, v121, v68
	s_movk_i32 s11, 0x2000
	s_movk_i32 s7, 0x120
	s_waitcnt vmcnt(9)
	v_mul_f64 v[123:124], v[10:11], v[76:77]
	s_waitcnt vmcnt(8)
	v_mul_f64 v[125:126], v[28:29], v[80:81]
	s_waitcnt lgkmcnt(5)
	v_mul_f64 v[76:77], v[38:39], v[76:77]
	s_waitcnt lgkmcnt(1)
	v_mul_f64 v[80:81], v[56:57], v[80:81]
	v_fma_f64 v[38:39], v[38:39], v[74:75], -v[123:124]
	v_fma_f64 v[56:57], v[56:57], v[78:79], -v[125:126]
	v_fma_f64 v[10:11], v[10:11], v[74:75], v[76:77]
	v_fma_f64 v[74:75], v[28:29], v[78:79], v[80:81]
	s_waitcnt vmcnt(7)
	v_mul_f64 v[106:107], v[24:25], v[84:85]
	v_mul_f64 v[78:79], v[52:53], v[84:85]
	v_add_f64 v[76:77], v[38:39], v[56:57]
	s_waitcnt vmcnt(6)
	v_mul_f64 v[28:29], v[26:27], v[88:89]
	v_add_f64 v[80:81], v[10:11], v[74:75]
	v_mul_f64 v[88:89], v[54:55], v[88:89]
	v_fma_f64 v[84:85], v[52:53], v[82:83], -v[106:107]
	v_add_f64 v[52:53], v[10:11], -v[74:75]
	v_fma_f64 v[78:79], v[24:25], v[82:83], v[78:79]
	v_add_f64 v[10:11], v[70:71], v[10:11]
	s_waitcnt lgkmcnt(0)
	v_fma_f64 v[76:77], v[76:77], -0.5, v[72:73]
	v_add_f64 v[72:73], v[72:73], v[38:39]
	v_add_f64 v[38:39], v[38:39], -v[56:57]
	v_fma_f64 v[80:81], v[80:81], -0.5, v[70:71]
	v_fma_f64 v[106:107], v[54:55], v[86:87], -v[28:29]
	v_fma_f64 v[86:87], v[26:27], v[86:87], v[88:89]
	v_fma_f64 v[28:29], v[52:53], s[2:3], v[76:77]
	;; [unrolled: 1-line block ×3, first 2 shown]
	v_add_f64 v[24:25], v[72:73], v[56:57]
	v_fma_f64 v[26:27], v[38:39], s[4:5], v[80:81]
	v_fma_f64 v[52:53], v[38:39], s[2:3], v[80:81]
	s_waitcnt vmcnt(5)
	v_mul_f64 v[38:39], v[22:23], v[92:93]
	s_waitcnt vmcnt(4)
	v_mul_f64 v[56:57], v[20:21], v[96:97]
	v_mul_f64 v[76:77], v[50:51], v[92:93]
	;; [unrolled: 1-line block ×3, first 2 shown]
	v_add_f64 v[82:83], v[84:85], v[106:107]
	v_add_f64 v[72:73], v[78:79], v[86:87]
	v_fma_f64 v[38:39], v[50:51], v[90:91], -v[38:39]
	v_fma_f64 v[44:45], v[44:45], v[94:95], -v[56:57]
	v_fma_f64 v[88:89], v[22:23], v[90:91], v[76:77]
	v_fma_f64 v[20:21], v[20:21], v[94:95], v[80:81]
	v_fma_f64 v[70:71], v[82:83], -0.5, v[48:49]
	v_add_f64 v[82:83], v[78:79], -v[86:87]
	v_add_f64 v[48:49], v[48:49], v[84:85]
	v_add_f64 v[56:57], v[84:85], -v[106:107]
	v_fma_f64 v[84:85], v[72:73], -0.5, v[16:17]
	v_add_f64 v[22:23], v[10:11], v[74:75]
	v_add_f64 v[10:11], v[38:39], v[44:45]
	;; [unrolled: 1-line block ×4, first 2 shown]
	s_waitcnt vmcnt(3)
	v_mul_f64 v[78:79], v[8:9], v[100:101]
	s_waitcnt vmcnt(2)
	v_mul_f64 v[80:81], v[18:19], v[111:112]
	v_fma_f64 v[50:51], v[82:83], s[2:3], v[70:71]
	v_fma_f64 v[72:73], v[82:83], s[4:5], v[70:71]
	v_add_f64 v[76:77], v[48:49], v[106:107]
	v_fma_f64 v[48:49], v[56:57], s[4:5], v[84:85]
	v_fma_f64 v[10:11], v[10:11], -0.5, v[46:47]
	v_add_f64 v[82:83], v[88:89], -v[20:21]
	v_fma_f64 v[70:71], v[56:57], s[2:3], v[84:85]
	v_add_f64 v[46:47], v[46:47], v[38:39]
	v_fma_f64 v[84:85], v[74:75], -0.5, v[14:15]
	v_fma_f64 v[78:79], v[36:37], v[98:99], -v[78:79]
	v_fma_f64 v[80:81], v[42:43], v[109:110], -v[80:81]
	v_add_f64 v[74:75], v[16:17], v[86:87]
	v_mul_f64 v[86:87], v[36:37], v[100:101]
	v_mul_f64 v[42:43], v[42:43], v[111:112]
	v_add_f64 v[56:57], v[38:39], -v[44:45]
	v_fma_f64 v[38:39], v[82:83], s[2:3], v[10:11]
	v_fma_f64 v[10:11], v[82:83], s[4:5], v[10:11]
	v_add_f64 v[16:17], v[46:47], v[44:45]
	v_add_f64 v[44:45], v[78:79], v[80:81]
	s_waitcnt vmcnt(1)
	v_mul_f64 v[46:47], v[6:7], v[115:116]
	s_waitcnt vmcnt(0)
	v_mul_f64 v[82:83], v[12:13], v[119:120]
	v_fma_f64 v[86:87], v[8:9], v[98:99], v[86:87]
	v_fma_f64 v[90:91], v[18:19], v[109:110], v[42:43]
	v_mul_f64 v[18:19], v[34:35], v[115:116]
	v_mul_f64 v[42:43], v[40:41], v[119:120]
	v_fma_f64 v[36:37], v[56:57], s[4:5], v[84:85]
	v_fma_f64 v[8:9], v[56:57], s[2:3], v[84:85]
	v_add_f64 v[14:15], v[14:15], v[88:89]
	v_fma_f64 v[34:35], v[34:35], v[113:114], -v[46:47]
	v_fma_f64 v[56:57], v[40:41], v[117:118], -v[82:83]
	v_fma_f64 v[40:41], v[44:45], -0.5, v[32:33]
	v_add_f64 v[44:45], v[86:87], v[90:91]
	v_add_f64 v[46:47], v[86:87], -v[90:91]
	v_fma_f64 v[6:7], v[6:7], v[113:114], v[18:19]
	v_fma_f64 v[12:13], v[12:13], v[117:118], v[42:43]
	v_add_f64 v[82:83], v[32:33], v[78:79]
	v_add_f64 v[14:15], v[14:15], v[20:21]
	;; [unrolled: 1-line block ×3, first 2 shown]
	v_add_f64 v[78:79], v[78:79], -v[80:81]
	v_fma_f64 v[44:45], v[44:45], -0.5, v[4:5]
	v_fma_f64 v[20:21], v[46:47], s[2:3], v[40:41]
	v_fma_f64 v[32:33], v[46:47], s[4:5], v[40:41]
	v_add_f64 v[40:41], v[6:7], v[12:13]
	v_add_f64 v[4:5], v[4:5], v[86:87]
	;; [unrolled: 1-line block ×3, first 2 shown]
	v_fma_f64 v[80:81], v[18:19], -0.5, v[30:31]
	v_add_f64 v[82:83], v[6:7], -v[12:13]
	v_fma_f64 v[18:19], v[78:79], s[4:5], v[44:45]
	v_add_f64 v[84:85], v[30:31], v[34:35]
	v_fma_f64 v[30:31], v[78:79], s[2:3], v[44:45]
	v_fma_f64 v[78:79], v[40:41], -0.5, v[2:3]
	v_add_f64 v[2:3], v[2:3], v[6:7]
	v_add_f64 v[40:41], v[4:5], v[90:91]
	v_mul_hi_u32 v4, v108, s10
	v_add_f64 v[34:35], v[34:35], -v[56:57]
	v_fma_f64 v[46:47], v[82:83], s[2:3], v[80:81]
	v_fma_f64 v[80:81], v[82:83], s[4:5], v[80:81]
	v_add_f64 v[84:85], v[84:85], v[56:57]
	v_add_f64 v[82:83], v[2:3], v[12:13]
	v_lshrrev_b32_e32 v2, 6, v4
	v_mul_u32_u24_e32 v2, 0x120, v2
	v_sub_u32_e32 v6, v108, v2
	v_lshlrev_b64 v[2:3], 4, v[102:103]
	v_mov_b32_e32 v4, s15
	v_add_co_u32_e32 v5, vcc, s14, v2
	v_fma_f64 v[44:45], v[34:35], s[4:5], v[78:79]
	v_fma_f64 v[78:79], v[34:35], s[2:3], v[78:79]
	v_addc_co_u32_e32 v7, vcc, v4, v3, vcc
	v_lshlrev_b64 v[2:3], 4, v[104:105]
	v_add_co_u32_e32 v4, vcc, v5, v2
	v_addc_co_u32_e32 v5, vcc, v7, v3, vcc
	v_lshlrev_b32_e32 v2, 4, v6
	v_add_co_u32_e32 v2, vcc, v4, v2
	v_addc_co_u32_e32 v3, vcc, 0, v5, vcc
	v_add_co_u32_e32 v6, vcc, s6, v2
	v_addc_co_u32_e32 v7, vcc, 0, v3, vcc
	global_store_dwordx4 v[6:7], v[78:81], off offset:512
	v_add_u32_e32 v6, 54, v108
	v_mul_hi_u32 v7, v6, s10
	global_store_dwordx4 v[2:3], v[82:85], off
	v_add_co_u32_e32 v2, vcc, s11, v2
	v_addc_co_u32_e32 v3, vcc, 0, v3, vcc
	global_store_dwordx4 v[2:3], v[44:47], off offset:1024
	v_lshrrev_b32_e32 v2, 6, v7
	v_mul_u32_u24_e32 v3, 0x120, v2
	v_sub_u32_e32 v3, v6, v3
	s_movk_i32 s11, 0x360
	v_mad_u32_u24 v68, v2, s11, v3
	v_lshlrev_b64 v[2:3], 4, v[68:69]
	v_add_u32_e32 v6, 0x6c, v108
	v_add_co_u32_e32 v2, vcc, v4, v2
	v_addc_co_u32_e32 v3, vcc, v5, v3, vcc
	global_store_dwordx4 v[2:3], v[40:43], off
	v_add_u32_e32 v2, 0x120, v68
	v_mov_b32_e32 v3, v69
	v_lshlrev_b64 v[2:3], 4, v[2:3]
	v_add_u32_e32 v68, 0x240, v68
	v_add_co_u32_e32 v2, vcc, v4, v2
	v_addc_co_u32_e32 v3, vcc, v5, v3, vcc
	global_store_dwordx4 v[2:3], v[30:33], off
	v_lshlrev_b64 v[2:3], 4, v[68:69]
	v_mul_hi_u32 v7, v6, s10
	v_add_co_u32_e32 v2, vcc, v4, v2
	v_addc_co_u32_e32 v3, vcc, v5, v3, vcc
	global_store_dwordx4 v[2:3], v[18:21], off
	v_lshrrev_b32_e32 v2, 6, v7
	v_mul_u32_u24_e32 v3, 0x120, v2
	v_sub_u32_e32 v3, v6, v3
	v_mad_u32_u24 v68, v2, s11, v3
	v_lshlrev_b64 v[2:3], 4, v[68:69]
	v_add_u32_e32 v6, 0xa2, v108
	v_add_co_u32_e32 v2, vcc, v4, v2
	v_addc_co_u32_e32 v3, vcc, v5, v3, vcc
	global_store_dwordx4 v[2:3], v[14:17], off
	v_add_u32_e32 v2, 0x120, v68
	v_mov_b32_e32 v3, v69
	v_lshlrev_b64 v[2:3], 4, v[2:3]
	v_add_u32_e32 v68, 0x240, v68
	v_add_co_u32_e32 v2, vcc, v4, v2
	v_addc_co_u32_e32 v3, vcc, v5, v3, vcc
	global_store_dwordx4 v[2:3], v[8:11], off
	v_lshlrev_b64 v[2:3], 4, v[68:69]
	v_mul_hi_u32 v7, v6, s10
	v_add_co_u32_e32 v2, vcc, v4, v2
	v_addc_co_u32_e32 v3, vcc, v5, v3, vcc
	global_store_dwordx4 v[2:3], v[36:39], off
	v_lshrrev_b32_e32 v2, 6, v7
	v_mul_u32_u24_e32 v3, 0x120, v2
	v_sub_u32_e32 v3, v6, v3
	;; [unrolled: 21-line block ×3, first 2 shown]
	v_mad_u32_u24 v68, v2, s11, v3
	v_lshlrev_b64 v[2:3], 4, v[68:69]
	v_add_co_u32_e32 v2, vcc, v4, v2
	v_addc_co_u32_e32 v3, vcc, v5, v3, vcc
	global_store_dwordx4 v[2:3], v[22:25], off
	v_add_u32_e32 v2, 0x120, v68
	v_mov_b32_e32 v3, v69
	v_lshlrev_b64 v[2:3], 4, v[2:3]
	v_add_u32_e32 v68, 0x240, v68
	v_add_co_u32_e32 v2, vcc, v4, v2
	v_addc_co_u32_e32 v3, vcc, v5, v3, vcc
	global_store_dwordx4 v[2:3], v[52:55], off
	v_lshlrev_b64 v[2:3], 4, v[68:69]
	v_add_co_u32_e32 v2, vcc, v4, v2
	v_addc_co_u32_e32 v3, vcc, v5, v3, vcc
	global_store_dwordx4 v[2:3], v[26:29], off
	v_add_u32_e32 v2, 0x10e, v108
	v_cmp_gt_u32_e32 vcc, s7, v2
	s_and_b64 exec, exec, vcc
	s_cbranch_execz .LBB0_34
; %bb.33:
	v_not_b32_e32 v3, 17
	v_mov_b32_e32 v6, 0x10e
	v_cndmask_b32_e64 v3, v3, v6, s[0:1]
	v_add_lshl_u32 v68, v108, v3, 1
	v_lshlrev_b64 v[6:7], 4, v[68:69]
	v_mov_b32_e32 v3, s9
	v_add_co_u32_e32 v6, vcc, s8, v6
	v_addc_co_u32_e32 v3, vcc, v3, v7, vcc
	v_add_co_u32_e32 v10, vcc, 0x11d0, v6
	s_mov_b64 s[0:1], vcc
	v_add_co_u32_e32 v6, vcc, s6, v6
	v_addc_co_u32_e32 v7, vcc, 0, v3, vcc
	v_addc_co_u32_e64 v11, vcc, 0, v3, s[0:1]
	global_load_dwordx4 v[6:9], v[6:7], off offset:464
	v_mov_b32_e32 v3, v69
	global_load_dwordx4 v[10:13], v[10:11], off offset:16
	v_lshlrev_b64 v[2:3], 4, v[2:3]
	v_add_u32_e32 v68, 0x22e, v108
	v_add_co_u32_e32 v18, vcc, v4, v2
	v_addc_co_u32_e32 v19, vcc, v5, v3, vcc
	v_lshlrev_b64 v[22:23], 4, v[68:69]
	v_add_u32_e32 v68, 0x34e, v108
	v_lshlrev_b64 v[24:25], 4, v[68:69]
	s_waitcnt vmcnt(1)
	v_mul_f64 v[14:15], v[62:63], v[8:9]
	v_mul_f64 v[8:9], v[58:59], v[8:9]
	s_waitcnt vmcnt(0)
	v_mul_f64 v[16:17], v[64:65], v[12:13]
	v_mul_f64 v[12:13], v[60:61], v[12:13]
	v_fma_f64 v[14:15], v[58:59], v[6:7], v[14:15]
	v_fma_f64 v[6:7], v[62:63], v[6:7], -v[8:9]
	v_fma_f64 v[8:9], v[60:61], v[10:11], v[16:17]
	v_fma_f64 v[10:11], v[64:65], v[10:11], -v[12:13]
	v_add_f64 v[2:3], v[66:67], v[14:15]
	v_add_f64 v[12:13], v[14:15], v[8:9]
	;; [unrolled: 1-line block ×3, first 2 shown]
	v_add_f64 v[20:21], v[6:7], -v[10:11]
	v_add_f64 v[6:7], v[0:1], v[6:7]
	v_add_f64 v[14:15], v[14:15], -v[8:9]
	v_fma_f64 v[12:13], v[12:13], -0.5, v[66:67]
	v_fma_f64 v[16:17], v[16:17], -0.5, v[0:1]
	v_add_f64 v[0:1], v[2:3], v[8:9]
	v_add_f64 v[2:3], v[6:7], v[10:11]
	v_fma_f64 v[6:7], v[20:21], s[2:3], v[12:13]
	v_fma_f64 v[8:9], v[14:15], s[4:5], v[16:17]
	;; [unrolled: 1-line block ×4, first 2 shown]
	v_add_co_u32_e32 v14, vcc, v4, v22
	v_addc_co_u32_e32 v15, vcc, v5, v23, vcc
	v_add_co_u32_e32 v4, vcc, v4, v24
	v_addc_co_u32_e32 v5, vcc, v5, v25, vcc
	global_store_dwordx4 v[18:19], v[0:3], off
	global_store_dwordx4 v[14:15], v[6:9], off
	;; [unrolled: 1-line block ×3, first 2 shown]
.LBB0_34:
	s_endpgm
	.section	.rodata,"a",@progbits
	.p2align	6, 0x0
	.amdhsa_kernel fft_rtc_back_len864_factors_3_6_16_3_wgs_54_tpt_54_halfLds_dp_op_CI_CI_unitstride_sbrr_dirReg
		.amdhsa_group_segment_fixed_size 0
		.amdhsa_private_segment_fixed_size 0
		.amdhsa_kernarg_size 104
		.amdhsa_user_sgpr_count 6
		.amdhsa_user_sgpr_private_segment_buffer 1
		.amdhsa_user_sgpr_dispatch_ptr 0
		.amdhsa_user_sgpr_queue_ptr 0
		.amdhsa_user_sgpr_kernarg_segment_ptr 1
		.amdhsa_user_sgpr_dispatch_id 0
		.amdhsa_user_sgpr_flat_scratch_init 0
		.amdhsa_user_sgpr_private_segment_size 0
		.amdhsa_uses_dynamic_stack 0
		.amdhsa_system_sgpr_private_segment_wavefront_offset 0
		.amdhsa_system_sgpr_workgroup_id_x 1
		.amdhsa_system_sgpr_workgroup_id_y 0
		.amdhsa_system_sgpr_workgroup_id_z 0
		.amdhsa_system_sgpr_workgroup_info 0
		.amdhsa_system_vgpr_workitem_id 0
		.amdhsa_next_free_vgpr 133
		.amdhsa_next_free_sgpr 28
		.amdhsa_reserve_vcc 1
		.amdhsa_reserve_flat_scratch 0
		.amdhsa_float_round_mode_32 0
		.amdhsa_float_round_mode_16_64 0
		.amdhsa_float_denorm_mode_32 3
		.amdhsa_float_denorm_mode_16_64 3
		.amdhsa_dx10_clamp 1
		.amdhsa_ieee_mode 1
		.amdhsa_fp16_overflow 0
		.amdhsa_exception_fp_ieee_invalid_op 0
		.amdhsa_exception_fp_denorm_src 0
		.amdhsa_exception_fp_ieee_div_zero 0
		.amdhsa_exception_fp_ieee_overflow 0
		.amdhsa_exception_fp_ieee_underflow 0
		.amdhsa_exception_fp_ieee_inexact 0
		.amdhsa_exception_int_div_zero 0
	.end_amdhsa_kernel
	.text
.Lfunc_end0:
	.size	fft_rtc_back_len864_factors_3_6_16_3_wgs_54_tpt_54_halfLds_dp_op_CI_CI_unitstride_sbrr_dirReg, .Lfunc_end0-fft_rtc_back_len864_factors_3_6_16_3_wgs_54_tpt_54_halfLds_dp_op_CI_CI_unitstride_sbrr_dirReg
                                        ; -- End function
	.section	.AMDGPU.csdata,"",@progbits
; Kernel info:
; codeLenInByte = 10092
; NumSgprs: 32
; NumVgprs: 133
; ScratchSize: 0
; MemoryBound: 1
; FloatMode: 240
; IeeeMode: 1
; LDSByteSize: 0 bytes/workgroup (compile time only)
; SGPRBlocks: 3
; VGPRBlocks: 33
; NumSGPRsForWavesPerEU: 32
; NumVGPRsForWavesPerEU: 133
; Occupancy: 1
; WaveLimiterHint : 1
; COMPUTE_PGM_RSRC2:SCRATCH_EN: 0
; COMPUTE_PGM_RSRC2:USER_SGPR: 6
; COMPUTE_PGM_RSRC2:TRAP_HANDLER: 0
; COMPUTE_PGM_RSRC2:TGID_X_EN: 1
; COMPUTE_PGM_RSRC2:TGID_Y_EN: 0
; COMPUTE_PGM_RSRC2:TGID_Z_EN: 0
; COMPUTE_PGM_RSRC2:TIDIG_COMP_CNT: 0
	.type	__hip_cuid_c7f42220a1dbcc27,@object ; @__hip_cuid_c7f42220a1dbcc27
	.section	.bss,"aw",@nobits
	.globl	__hip_cuid_c7f42220a1dbcc27
__hip_cuid_c7f42220a1dbcc27:
	.byte	0                               ; 0x0
	.size	__hip_cuid_c7f42220a1dbcc27, 1

	.ident	"AMD clang version 19.0.0git (https://github.com/RadeonOpenCompute/llvm-project roc-6.4.0 25133 c7fe45cf4b819c5991fe208aaa96edf142730f1d)"
	.section	".note.GNU-stack","",@progbits
	.addrsig
	.addrsig_sym __hip_cuid_c7f42220a1dbcc27
	.amdgpu_metadata
---
amdhsa.kernels:
  - .args:
      - .actual_access:  read_only
        .address_space:  global
        .offset:         0
        .size:           8
        .value_kind:     global_buffer
      - .offset:         8
        .size:           8
        .value_kind:     by_value
      - .actual_access:  read_only
        .address_space:  global
        .offset:         16
        .size:           8
        .value_kind:     global_buffer
      - .actual_access:  read_only
        .address_space:  global
        .offset:         24
        .size:           8
        .value_kind:     global_buffer
      - .actual_access:  read_only
        .address_space:  global
        .offset:         32
        .size:           8
        .value_kind:     global_buffer
      - .offset:         40
        .size:           8
        .value_kind:     by_value
      - .actual_access:  read_only
        .address_space:  global
        .offset:         48
        .size:           8
        .value_kind:     global_buffer
      - .actual_access:  read_only
        .address_space:  global
        .offset:         56
        .size:           8
        .value_kind:     global_buffer
      - .offset:         64
        .size:           4
        .value_kind:     by_value
      - .actual_access:  read_only
        .address_space:  global
        .offset:         72
        .size:           8
        .value_kind:     global_buffer
      - .actual_access:  read_only
        .address_space:  global
        .offset:         80
        .size:           8
        .value_kind:     global_buffer
      - .actual_access:  read_only
        .address_space:  global
        .offset:         88
        .size:           8
        .value_kind:     global_buffer
      - .actual_access:  write_only
        .address_space:  global
        .offset:         96
        .size:           8
        .value_kind:     global_buffer
    .group_segment_fixed_size: 0
    .kernarg_segment_align: 8
    .kernarg_segment_size: 104
    .language:       OpenCL C
    .language_version:
      - 2
      - 0
    .max_flat_workgroup_size: 54
    .name:           fft_rtc_back_len864_factors_3_6_16_3_wgs_54_tpt_54_halfLds_dp_op_CI_CI_unitstride_sbrr_dirReg
    .private_segment_fixed_size: 0
    .sgpr_count:     32
    .sgpr_spill_count: 0
    .symbol:         fft_rtc_back_len864_factors_3_6_16_3_wgs_54_tpt_54_halfLds_dp_op_CI_CI_unitstride_sbrr_dirReg.kd
    .uniform_work_group_size: 1
    .uses_dynamic_stack: false
    .vgpr_count:     133
    .vgpr_spill_count: 0
    .wavefront_size: 64
amdhsa.target:   amdgcn-amd-amdhsa--gfx906
amdhsa.version:
  - 1
  - 2
...

	.end_amdgpu_metadata
